;; amdgpu-corpus repo=ROCm/rocFFT kind=compiled arch=gfx1030 opt=O3
	.text
	.amdgcn_target "amdgcn-amd-amdhsa--gfx1030"
	.amdhsa_code_object_version 6
	.protected	fft_rtc_fwd_len343_factors_7_7_7_wgs_245_tpt_49_sp_op_CI_CI_sbrc_xy_z_aligned ; -- Begin function fft_rtc_fwd_len343_factors_7_7_7_wgs_245_tpt_49_sp_op_CI_CI_sbrc_xy_z_aligned
	.globl	fft_rtc_fwd_len343_factors_7_7_7_wgs_245_tpt_49_sp_op_CI_CI_sbrc_xy_z_aligned
	.p2align	8
	.type	fft_rtc_fwd_len343_factors_7_7_7_wgs_245_tpt_49_sp_op_CI_CI_sbrc_xy_z_aligned,@function
fft_rtc_fwd_len343_factors_7_7_7_wgs_245_tpt_49_sp_op_CI_CI_sbrc_xy_z_aligned: ; @fft_rtc_fwd_len343_factors_7_7_7_wgs_245_tpt_49_sp_op_CI_CI_sbrc_xy_z_aligned
; %bb.0:
	s_clause 0x1
	s_load_dwordx4 s[16:19], s[4:5], 0x10
	s_load_dwordx2 s[26:27], s[4:5], 0x20
	s_waitcnt lgkmcnt(0)
	s_load_dwordx4 s[20:23], s[16:17], 0x8
	s_clause 0x1
	s_load_dwordx4 s[12:15], s[18:19], 0x0
	s_load_dwordx2 s[24:25], s[18:19], 0x10
	s_waitcnt lgkmcnt(0)
	s_add_i32 s0, s22, -1
	s_load_dwordx2 s[22:23], s[4:5], 0x0
	s_mul_hi_u32 s0, s0, 0xcccccccd
	s_lshr_b32 s0, s0, 2
	s_add_i32 s0, s0, 1
	s_mul_i32 s28, s0, s20
	v_cvt_f32_u32_e32 v1, s28
	s_sub_i32 s1, 0, s28
	v_rcp_iflag_f32_e32 v1, v1
	v_mul_f32_e32 v1, 0x4f7ffffe, v1
	v_cvt_u32_f32_e32 v1, v1
	v_readfirstlane_b32 s0, v1
	v_cvt_f32_u32_e32 v1, s20
	s_mul_i32 s1, s1, s0
	s_mul_hi_u32 s1, s0, s1
	s_add_i32 s7, s0, s1
	s_load_dwordx4 s[0:3], s[4:5], 0x58
	s_mul_hi_u32 s7, s6, s7
	s_mul_i32 s8, s7, s28
	s_add_i32 s25, s7, 1
	s_sub_i32 s15, s6, s8
	s_clause 0x1
	s_load_dwordx4 s[8:11], s[26:27], 0x0
	s_load_dwordx2 s[16:17], s[26:27], 0x10
	s_sub_i32 s29, s15, s28
	s_cmp_ge_u32 s15, s28
	s_cselect_b32 s7, s25, s7
	s_waitcnt lgkmcnt(0)
	s_cselect_b32 s11, s29, s15
	s_add_i32 s15, s7, 1
	s_cmp_ge_u32 s11, s28
	s_cselect_b32 s11, s15, s7
	s_mov_b32 s7, 0
	s_mul_i32 s15, s11, s28
	s_mov_b32 s31, s7
	s_sub_i32 s30, s6, s15
	s_mov_b64 s[28:29], 0
	v_cmp_lt_u64_e64 s15, s[30:31], s[20:21]
	s_and_b32 vcc_lo, exec_lo, s15
	s_cbranch_vccnz .LBB0_2
; %bb.1:
	v_rcp_iflag_f32_e32 v2, v1
	s_sub_i32 s17, 0, s20
	v_mul_f32_e32 v2, 0x4f7ffffe, v2
	v_cvt_u32_f32_e32 v2, v2
	v_readfirstlane_b32 s15, v2
	s_mul_i32 s17, s17, s15
	s_mul_hi_u32 s17, s15, s17
	s_add_i32 s15, s15, s17
	s_mul_hi_u32 s15, s30, s15
	s_mul_i32 s17, s15, s20
	s_add_i32 s25, s15, 1
	s_sub_i32 s17, s30, s17
	s_sub_i32 s28, s17, s20
	s_cmp_ge_u32 s17, s20
	s_cselect_b32 s15, s25, s15
	s_cselect_b32 s17, s28, s17
	s_add_i32 s25, s15, 1
	s_cmp_ge_u32 s17, s20
	s_cselect_b32 s28, s25, s15
.LBB0_2:
	v_cmp_lt_u64_e64 s7, s[6:7], s[20:21]
	s_and_b32 vcc_lo, exec_lo, s7
	s_cbranch_vccnz .LBB0_4
; %bb.3:
	v_rcp_iflag_f32_e32 v1, v1
	s_sub_i32 s15, 0, s20
	v_mul_f32_e32 v1, 0x4f7ffffe, v1
	v_cvt_u32_f32_e32 v1, v1
	v_readfirstlane_b32 s7, v1
	s_mul_i32 s15, s15, s7
	s_mul_hi_u32 s15, s7, s15
	s_add_i32 s7, s7, s15
	s_mul_hi_u32 s7, s6, s7
	s_mul_i32 s7, s7, s20
	s_sub_i32 s6, s6, s7
	s_sub_i32 s7, s6, s20
	s_cmp_ge_u32 s6, s20
	s_cselect_b32 s6, s7, s6
	s_sub_i32 s7, s6, s20
	s_cmp_ge_u32 s6, s20
	s_cselect_b32 s6, s7, s6
.LBB0_4:
	s_load_dwordx2 s[20:21], s[4:5], 0x8
	v_add_nc_u32_e32 v1, 0xf5, v0
	s_mul_i32 s4, s28, 5
	s_mul_i32 s5, s6, s14
	;; [unrolled: 1-line block ×4, first 2 shown]
	s_mul_hi_u32 s17, s8, s4
	s_add_i32 s14, s5, s7
	s_add_i32 s5, s17, s15
	v_add_nc_u32_e32 v6, 0x1ea, v0
	v_mul_u32_u24_e32 v2, 0x17f, v1
	v_mad_u64_u32 v[3:4], null, s12, v0, 0
	v_add_nc_u32_e32 v8, 0x2df, v0
	v_mul_u32_u24_e32 v5, 0x2fd, v6
	v_lshrrev_b32_e32 v7, 17, v2
	v_mov_b32_e32 v2, 0
	s_mov_b32 s15, 0
	v_mul_u32_u24_e32 v10, 0x2fd, v8
	v_lshrrev_b32_e32 v14, 18, v5
	s_waitcnt lgkmcnt(0)
	s_lshl_b64 s[20:21], s[20:21], 3
	v_mul_lo_u16 v9, 0x157, v7
	s_add_u32 s18, s18, s20
	s_addc_u32 s19, s19, s21
	v_lshrrev_b32_e32 v16, 18, v10
	s_load_dwordx2 s[28:29], s[18:19], 0x0
	v_sub_nc_u16 v5, v1, v9
	v_mov_b32_e32 v1, v4
	v_mul_lo_u16 v9, 0x157, v14
	v_add_nc_u32_e32 v15, 0x3d4, v0
	v_and_b32_e32 v10, 0xffff, v5
	v_mad_u64_u32 v[4:5], null, s13, v0, v[1:2]
	v_mul_lo_u32 v1, s24, v7
	v_sub_nc_u16 v7, v6, v9
	v_mul_lo_u16 v9, 0x157, v16
	v_mad_u64_u32 v[5:6], null, s12, v10, 0
	v_mul_u32_u24_e32 v18, 0x5f9, v15
	v_and_b32_e32 v17, 0xffff, v7
	v_sub_nc_u16 v11, v8, v9
	v_lshlrev_b64 v[3:4], 3, v[3:4]
	v_lshrrev_b32_e32 v20, 19, v18
	s_waitcnt lgkmcnt(0)
	s_mul_i32 s7, s29, s11
	s_mul_hi_u32 s17, s28, s11
	v_mad_u64_u32 v[7:8], null, s12, v17, 0
	s_add_i32 s29, s17, s7
	s_add_u32 s18, s26, s20
	s_addc_u32 s19, s27, s21
	s_mul_i32 s28, s28, s11
	s_load_dwordx2 s[18:19], s[18:19], 0x0
	s_lshl_b64 s[20:21], s[28:29], 3
	v_mad_u64_u32 v[9:10], null, s13, v10, v[6:7]
	v_and_b32_e32 v19, 0xffff, v11
	v_lshlrev_b64 v[10:11], 3, v[1:2]
	v_mov_b32_e32 v1, v8
	v_mad_u64_u32 v[12:13], null, s12, v19, 0
	v_mov_b32_e32 v6, v9
	v_mad_u64_u32 v[8:9], null, s13, v17, v[1:2]
	v_add_nc_u32_e32 v17, 0x5be, v0
	v_lshlrev_b64 v[5:6], 3, v[5:6]
	v_mov_b32_e32 v9, v13
	v_mul_lo_u16 v13, 0x157, v20
	s_waitcnt lgkmcnt(0)
	s_mul_i32 s7, s19, s11
	s_mul_hi_u32 s17, s18, s11
	v_lshlrev_b64 v[7:8], 3, v[7:8]
	s_add_i32 s7, s17, s7
	s_add_u32 s17, s0, s20
	s_addc_u32 s19, s1, s21
	s_lshl_b64 s[0:1], s[14:15], 3
	s_mul_i32 s14, s6, s16
	s_add_u32 s0, s17, s0
	s_addc_u32 s1, s19, s1
	v_add_co_u32 v1, vcc_lo, s0, v5
	v_add_co_ci_u32_e32 v6, vcc_lo, s1, v6, vcc_lo
	v_add_co_u32 v3, vcc_lo, s0, v3
	v_add_co_ci_u32_e32 v4, vcc_lo, s1, v4, vcc_lo
	;; [unrolled: 2-line block ×3, first 2 shown]
	v_add_nc_u32_e32 v11, 0x4c9, v0
	v_mul_lo_u32 v1, s24, v14
	v_mad_u64_u32 v[9:10], null, s13, v19, v[9:10]
	v_sub_nc_u16 v10, v15, v13
	v_mul_u32_u24_e32 v14, 0x5f9, v11
	v_mul_u32_u24_e32 v13, 0x5f9, v17
	s_mul_i32 s6, s18, s11
	v_and_b32_e32 v18, 0xffff, v10
	v_lshrrev_b32_e32 v24, 19, v14
	v_add_co_u32 v14, vcc_lo, s0, v7
	v_add_co_ci_u32_e32 v15, vcc_lo, s1, v8, vcc_lo
	v_lshlrev_b64 v[7:8], 3, v[1:2]
	v_mul_lo_u16 v1, 0x157, v24
	v_lshrrev_b32_e32 v25, 19, v13
	v_mov_b32_e32 v13, v9
	v_mad_u64_u32 v[9:10], null, s12, v18, 0
	v_sub_nc_u16 v11, v11, v1
	v_mul_lo_u16 v1, 0x157, v25
	v_add_co_u32 v7, vcc_lo, v14, v7
	v_add_co_ci_u32_e32 v8, vcc_lo, v15, v8, vcc_lo
	v_sub_nc_u16 v14, v17, v1
	v_and_b32_e32 v21, 0xffff, v11
	v_lshlrev_b64 v[11:12], 3, v[12:13]
	v_mul_lo_u32 v1, s24, v16
	v_and_b32_e32 v22, 0xffff, v14
	v_mad_u64_u32 v[13:14], null, s12, v21, 0
	v_mad_u64_u32 v[15:16], null, s13, v18, v[10:11]
	;; [unrolled: 1-line block ×3, first 2 shown]
	v_add_co_u32 v23, vcc_lo, s0, v11
	v_mov_b32_e32 v11, v14
	v_add_co_ci_u32_e32 v26, vcc_lo, s1, v12, vcc_lo
	v_lshlrev_b64 v[18:19], 3, v[1:2]
	v_mul_lo_u32 v1, s24, v20
	v_mad_u64_u32 v[11:12], null, s13, v21, v[11:12]
	v_mov_b32_e32 v12, v17
	v_mov_b32_e32 v10, v15
	v_add_co_u32 v18, vcc_lo, v23, v18
	v_add_co_ci_u32_e32 v19, vcc_lo, v26, v19, vcc_lo
	v_mad_u64_u32 v[22:23], null, s13, v22, v[12:13]
	v_lshlrev_b64 v[9:10], 3, v[9:10]
	v_lshlrev_b64 v[20:21], 3, v[1:2]
	v_mul_lo_u32 v1, s24, v24
	v_mov_b32_e32 v14, v11
	v_add_co_u32 v11, vcc_lo, s0, v9
	v_mov_b32_e32 v17, v22
	v_add_co_ci_u32_e32 v12, vcc_lo, s1, v10, vcc_lo
	v_lshlrev_b64 v[9:10], 3, v[13:14]
	v_lshlrev_b64 v[13:14], 3, v[1:2]
	v_mul_lo_u32 v1, s24, v25
	v_add_co_u32 v11, vcc_lo, v11, v20
	v_lshlrev_b64 v[15:16], 3, v[16:17]
	v_add_co_ci_u32_e32 v12, vcc_lo, v12, v21, vcc_lo
	v_add_co_u32 v17, vcc_lo, s0, v9
	v_add_co_ci_u32_e32 v20, vcc_lo, s1, v10, vcc_lo
	v_add_co_u32 v15, vcc_lo, s0, v15
	v_lshlrev_b64 v[9:10], 3, v[1:2]
	v_add_co_ci_u32_e32 v16, vcc_lo, s1, v16, vcc_lo
	v_add_co_u32 v13, vcc_lo, v17, v13
	v_add_co_ci_u32_e32 v14, vcc_lo, v20, v14, vcc_lo
	v_add_co_u32 v9, vcc_lo, v15, v9
	v_add_co_ci_u32_e32 v10, vcc_lo, v16, v10, vcc_lo
	s_clause 0x6
	global_load_dwordx2 v[15:16], v[3:4], off
	global_load_dwordx2 v[5:6], v[5:6], off
	;; [unrolled: 1-line block ×7, first 2 shown]
	v_mul_u32_u24_e32 v1, 0x53a, v0
	v_lshl_add_u32 v22, v0, 3, 0
	s_mul_i32 s0, s10, 49
	v_lshrrev_b32_e32 v1, 16, v1
	v_add_nc_u32_e32 v23, 0xf00, v22
	v_add_nc_u32_e32 v24, 0x1e80, v22
	s_waitcnt vmcnt(5)
	ds_write2_b64 v22, v[15:16], v[5:6] offset1:245
	s_waitcnt vmcnt(3)
	ds_write2_b64 v23, v[7:8], v[17:18] offset0:10 offset1:255
	s_waitcnt vmcnt(1)
	ds_write2_b64 v24, v[11:12], v[13:14] offset0:4 offset1:249
	s_waitcnt vmcnt(0)
	ds_write_b64 v22, v[9:10] offset:11760
	v_mul_lo_u16 v3, v1, 49
	v_add_nc_u32_e32 v1, s4, v1
	s_waitcnt lgkmcnt(0)
	s_barrier
	buffer_gl0_inv
	v_sub_nc_u16 v19, v0, v3
	v_mul_hi_u32 v3, 0xcccccccd, v1
	v_mov_b32_e32 v18, 6
	s_mul_i32 s4, s8, s4
	v_and_b32_e32 v4, 0xff, v19
	v_and_b32_e32 v30, 0xffff, v19
	s_lshl_b64 s[4:5], s[4:5], 3
	v_lshrrev_b32_e32 v3, 2, v3
	v_mul_lo_u16 v4, v4, 37
	v_lshlrev_b32_e32 v20, 3, v30
	s_add_u32 s1, s2, s4
	s_addc_u32 s4, s3, s5
	v_lshl_add_u32 v3, v3, 2, v3
	v_lshrrev_b16 v4, 8, v4
	s_lshl_b64 s[2:3], s[14:15], 3
	s_add_u32 s1, s1, s2
	v_sub_nc_u32_e32 v1, v1, v3
	v_sub_nc_u16 v3, v19, v4
	s_addc_u32 s4, s4, s3
	s_lshl_b64 s[2:3], s[6:7], 3
	v_mul_u32_u24_e32 v1, 0x157, v1
	v_lshrrev_b16 v3, 1, v3
	s_add_u32 s1, s1, s2
	s_addc_u32 s2, s4, s3
	v_lshlrev_b32_e32 v1, 3, v1
	v_and_b32_e32 v21, 0x7f, v3
	v_add3_u32 v3, 0, v20, v1
	v_add_nc_u16 v21, v21, v4
	v_add_nc_u32_e32 v4, 0x400, v3
	v_lshrrev_b16 v26, 2, v21
	ds_read2_b64 v[6:9], v3 offset0:49 offset1:98
	ds_read2_b64 v[10:13], v4 offset0:117 offset1:166
	;; [unrolled: 1-line block ×3, first 2 shown]
	v_mul_lo_u16 v5, v26, 7
	v_sub_nc_u16 v31, v19, v5
	v_add3_u32 v5, 0, v1, v20
	v_mad_u32_u24 v20, v30, 48, v3
	v_mul_u32_u24_e32 v30, 6, v30
	v_mul_u32_u24_sdwa v18, v31, v18 dst_sel:DWORD dst_unused:UNUSED_PAD src0_sel:BYTE_0 src1_sel:DWORD
	v_lshlrev_b32_e32 v21, 3, v18
	ds_read_b64 v[18:19], v5
	s_waitcnt lgkmcnt(0)
	v_add_f32_e32 v22, v6, v12
	v_add_f32_e32 v23, v7, v13
	v_sub_f32_e32 v6, v6, v12
	v_sub_f32_e32 v7, v7, v13
	v_add_f32_e32 v12, v8, v10
	v_add_f32_e32 v13, v9, v11
	v_sub_f32_e32 v8, v8, v10
	v_sub_f32_e32 v9, v9, v11
	;; [unrolled: 4-line block ×4, first 2 shown]
	v_sub_f32_e32 v22, v22, v10
	v_sub_f32_e32 v23, v23, v11
	;; [unrolled: 1-line block ×4, first 2 shown]
	v_add_f32_e32 v27, v14, v8
	v_add_f32_e32 v28, v15, v9
	v_sub_f32_e32 v29, v14, v8
	v_sub_f32_e32 v32, v15, v9
	v_add_f32_e32 v10, v10, v16
	v_add_f32_e32 v11, v11, v17
	v_sub_f32_e32 v14, v6, v14
	v_sub_f32_e32 v15, v7, v15
	;; [unrolled: 1-line block ×4, first 2 shown]
	v_add_f32_e32 v16, v27, v6
	v_add_f32_e32 v17, v28, v7
	v_mul_f32_e32 v27, 0x3d64c772, v12
	v_mul_f32_e32 v28, 0x3d64c772, v13
	;; [unrolled: 1-line block ×4, first 2 shown]
	v_add_f32_e32 v6, v10, v18
	v_add_f32_e32 v7, v11, v19
	v_mul_f32_e32 v22, 0x3f4a47b2, v22
	v_mul_f32_e32 v23, 0x3f4a47b2, v23
	v_mul_f32_e32 v33, 0x3f5ff5aa, v8
	v_mul_f32_e32 v34, 0x3f5ff5aa, v9
	v_fma_f32 v18, 0x3f3bfb3b, v24, -v27
	v_fma_f32 v19, 0x3f3bfb3b, v25, -v28
	;; [unrolled: 1-line block ×4, first 2 shown]
	v_mov_b32_e32 v8, v6
	v_mov_b32_e32 v9, v7
	v_fmamk_f32 v12, v12, 0x3d64c772, v22
	v_fmamk_f32 v13, v13, 0x3d64c772, v23
	v_fma_f32 v22, 0xbf3bfb3b, v24, -v22
	v_fma_f32 v23, 0xbf3bfb3b, v25, -v23
	v_fmamk_f32 v24, v14, 0x3eae86e6, v29
	v_fmamk_f32 v25, v15, 0x3eae86e6, v32
	v_fma_f32 v29, 0xbeae86e6, v14, -v33
	v_fma_f32 v32, 0xbeae86e6, v15, -v34
	v_fmac_f32_e32 v8, 0xbf955555, v10
	v_fmac_f32_e32 v9, 0xbf955555, v11
	;; [unrolled: 1-line block ×8, first 2 shown]
	v_add_f32_e32 v33, v12, v8
	v_add_f32_e32 v34, v13, v9
	;; [unrolled: 1-line block ×7, first 2 shown]
	v_sub_f32_e32 v9, v34, v24
	v_add_f32_e32 v10, v32, v16
	v_sub_f32_e32 v11, v17, v29
	v_sub_f32_e32 v12, v14, v28
	v_add_f32_e32 v13, v27, v15
	v_add_f32_e32 v14, v28, v14
	v_sub_f32_e32 v15, v15, v27
	v_sub_f32_e32 v16, v16, v32
	v_add_f32_e32 v17, v29, v17
	v_sub_f32_e32 v18, v33, v25
	v_add_f32_e32 v19, v24, v34
	s_barrier
	buffer_gl0_inv
	ds_write_b64 v20, v[6:7]
	ds_write2_b64 v20, v[8:9], v[10:11] offset0:1 offset1:2
	ds_write2_b64 v20, v[12:13], v[14:15] offset0:3 offset1:4
	;; [unrolled: 1-line block ×3, first 2 shown]
	s_waitcnt lgkmcnt(0)
	s_barrier
	buffer_gl0_inv
	s_clause 0x2
	global_load_dwordx4 v[6:9], v21, s[22:23]
	global_load_dwordx4 v[10:13], v21, s[22:23] offset:16
	global_load_dwordx4 v[14:17], v21, s[22:23] offset:32
	ds_read2_b64 v[18:21], v3 offset0:49 offset1:98
	ds_read2_b64 v[22:25], v3 offset0:147 offset1:196
	v_and_b32_e32 v32, 0xffff, v26
	ds_read2_b64 v[26:29], v4 offset0:117 offset1:166
	v_mov_b32_e32 v33, 3
	v_lshlrev_b32_e32 v34, 3, v30
	v_mad_u32_u24 v32, 0x188, v32, 0
	v_lshlrev_b32_sdwa v31, v33, v31 dst_sel:DWORD dst_unused:UNUSED_PAD src0_sel:DWORD src1_sel:BYTE_0
	v_add3_u32 v1, v32, v31, v1
	ds_read_b64 v[30:31], v5
	s_waitcnt vmcnt(0) lgkmcnt(0)
	s_barrier
	buffer_gl0_inv
	v_mul_f32_e32 v32, v7, v19
	v_mul_f32_e32 v7, v7, v18
	;; [unrolled: 1-line block ×12, first 2 shown]
	v_fma_f32 v18, v6, v18, -v32
	v_fmac_f32_e32 v7, v6, v19
	v_fma_f32 v6, v8, v20, -v35
	v_fmac_f32_e32 v9, v8, v21
	;; [unrolled: 2-line block ×3, first 2 shown]
	v_fma_f32 v10, v12, v24, -v37
	v_fma_f32 v19, v16, v28, -v39
	v_fmac_f32_e32 v17, v16, v29
	v_fmac_f32_e32 v13, v12, v25
	v_fma_f32 v12, v14, v26, -v38
	v_fmac_f32_e32 v15, v14, v27
	v_add_f32_e32 v14, v18, v19
	v_add_f32_e32 v16, v7, v17
	v_sub_f32_e32 v18, v18, v19
	v_sub_f32_e32 v7, v7, v17
	v_add_f32_e32 v17, v6, v12
	v_add_f32_e32 v19, v9, v15
	v_sub_f32_e32 v6, v6, v12
	v_sub_f32_e32 v9, v9, v15
	;; [unrolled: 4-line block ×4, first 2 shown]
	v_sub_f32_e32 v14, v14, v12
	v_sub_f32_e32 v16, v16, v15
	;; [unrolled: 1-line block ×4, first 2 shown]
	v_add_f32_e32 v22, v8, v6
	v_add_f32_e32 v23, v10, v9
	v_sub_f32_e32 v24, v8, v6
	v_sub_f32_e32 v25, v10, v9
	;; [unrolled: 1-line block ×3, first 2 shown]
	v_add_f32_e32 v11, v12, v11
	v_add_f32_e32 v12, v15, v13
	v_sub_f32_e32 v8, v18, v8
	v_sub_f32_e32 v10, v7, v10
	;; [unrolled: 1-line block ×3, first 2 shown]
	v_add_f32_e32 v13, v22, v18
	v_add_f32_e32 v15, v23, v7
	v_mul_f32_e32 v14, 0x3f4a47b2, v14
	v_mul_f32_e32 v16, 0x3f4a47b2, v16
	v_mul_f32_e32 v18, 0x3d64c772, v17
	v_mul_f32_e32 v22, 0x3d64c772, v19
	v_mul_f32_e32 v23, 0xbf08b237, v24
	v_mul_f32_e32 v24, 0xbf08b237, v25
	v_mul_f32_e32 v25, 0x3f5ff5aa, v26
	v_add_f32_e32 v6, v11, v30
	v_add_f32_e32 v7, v12, v31
	v_mul_f32_e32 v27, 0x3f5ff5aa, v9
	v_fmamk_f32 v17, v17, 0x3d64c772, v14
	v_fmamk_f32 v19, v19, 0x3d64c772, v16
	v_fma_f32 v18, 0x3f3bfb3b, v20, -v18
	v_fma_f32 v22, 0x3f3bfb3b, v21, -v22
	;; [unrolled: 1-line block ×4, first 2 shown]
	v_fmamk_f32 v20, v8, 0x3eae86e6, v23
	v_fmamk_f32 v21, v10, 0x3eae86e6, v24
	v_fma_f32 v24, 0x3f5ff5aa, v9, -v24
	v_fma_f32 v25, 0xbeae86e6, v8, -v25
	v_mov_b32_e32 v8, v6
	v_mov_b32_e32 v9, v7
	v_fma_f32 v23, 0x3f5ff5aa, v26, -v23
	v_fma_f32 v26, 0xbeae86e6, v10, -v27
	v_fmac_f32_e32 v20, 0x3ee1c552, v13
	v_fmac_f32_e32 v8, 0xbf955555, v11
	;; [unrolled: 1-line block ×6, first 2 shown]
	v_add_f32_e32 v27, v17, v8
	v_add_f32_e32 v19, v19, v9
	v_fmac_f32_e32 v25, 0x3ee1c552, v13
	v_fmac_f32_e32 v26, 0x3ee1c552, v15
	v_add_f32_e32 v15, v18, v8
	v_add_f32_e32 v17, v14, v8
	;; [unrolled: 1-line block ×5, first 2 shown]
	v_sub_f32_e32 v9, v19, v20
	v_add_f32_e32 v10, v26, v17
	v_sub_f32_e32 v11, v18, v25
	v_sub_f32_e32 v12, v15, v24
	v_add_f32_e32 v13, v23, v16
	v_add_f32_e32 v14, v24, v15
	v_sub_f32_e32 v15, v16, v23
	v_sub_f32_e32 v16, v17, v26
	v_add_f32_e32 v17, v25, v18
	v_sub_f32_e32 v18, v27, v21
	v_add_f32_e32 v19, v20, v19
	ds_write2_b64 v1, v[6:7], v[8:9] offset1:7
	ds_write2_b64 v1, v[10:11], v[12:13] offset0:14 offset1:21
	ds_write2_b64 v1, v[14:15], v[16:17] offset0:28 offset1:35
	ds_write_b64 v1, v[18:19] offset:336
	s_waitcnt lgkmcnt(0)
	s_barrier
	buffer_gl0_inv
	s_clause 0x2
	global_load_dwordx4 v[6:9], v34, s[22:23] offset:336
	global_load_dwordx4 v[10:13], v34, s[22:23] offset:352
	;; [unrolled: 1-line block ×3, first 2 shown]
	v_mul_u32_u24_e32 v1, 0x3334, v0
	v_lshrrev_b32_e32 v20, 16, v1
	v_mul_lo_u16 v1, v20, 5
	v_lshlrev_b32_e32 v23, 3, v20
	v_sub_nc_u16 v0, v0, v1
	v_mul_lo_u32 v1, s10, v20
	v_and_b32_e32 v21, 0xffff, v0
	v_mul_lo_u16 v22, 0x157, v0
	v_lshlrev_b64 v[26:27], 3, v[1:2]
	v_mad_u64_u32 v[18:19], null, s8, v21, 0
	v_lshlrev_b32_sdwa v22, v33, v22 dst_sel:DWORD dst_unused:UNUSED_PAD src0_sel:DWORD src1_sel:WORD_0
	v_add3_u32 v40, 0, v22, v23
	v_mov_b32_e32 v0, v19
	v_mad_u64_u32 v[19:20], null, s9, v21, v[0:1]
	v_add3_u32 v0, 0, v23, v22
	ds_read2_b64 v[22:25], v3 offset0:147 offset1:196
	v_add_nc_u32_e32 v1, s0, v1
	v_add_nc_u32_e32 v41, 0x400, v0
	v_lshlrev_b64 v[18:19], 3, v[18:19]
	v_lshlrev_b64 v[30:31], 3, v[1:2]
	v_add_nc_u32_e32 v1, s0, v1
	v_add_co_u32 v42, vcc_lo, s1, v18
	v_add_co_ci_u32_e32 v43, vcc_lo, s2, v19, vcc_lo
	ds_read2_b64 v[18:21], v3 offset0:49 offset1:98
	v_add_co_u32 v38, vcc_lo, v42, v26
	v_add_co_ci_u32_e32 v39, vcc_lo, v43, v27, vcc_lo
	ds_read2_b64 v[26:29], v4 offset0:117 offset1:166
	ds_read_b64 v[4:5], v5
	v_lshlrev_b64 v[32:33], 3, v[1:2]
	v_add_nc_u32_e32 v1, s0, v1
	s_waitcnt vmcnt(0) lgkmcnt(0)
	s_barrier
	buffer_gl0_inv
	v_add_co_u32 v30, vcc_lo, v42, v30
	v_lshlrev_b64 v[34:35], 3, v[1:2]
	v_add_nc_u32_e32 v1, s0, v1
	v_add_co_ci_u32_e32 v31, vcc_lo, v43, v31, vcc_lo
	v_add_co_u32 v32, vcc_lo, v42, v32
	v_lshlrev_b64 v[36:37], 3, v[1:2]
	v_add_nc_u32_e32 v1, s0, v1
	v_add_co_ci_u32_e32 v33, vcc_lo, v43, v33, vcc_lo
	v_mul_f32_e32 v44, v7, v19
	v_mul_f32_e32 v7, v7, v18
	;; [unrolled: 1-line block ×12, first 2 shown]
	v_fma_f32 v18, v6, v18, -v44
	v_fmac_f32_e32 v7, v6, v19
	v_fma_f32 v6, v8, v20, -v45
	v_fmac_f32_e32 v9, v8, v21
	;; [unrolled: 2-line block ×3, first 2 shown]
	v_fma_f32 v10, v12, v24, -v47
	v_fma_f32 v19, v16, v28, -v49
	v_fmac_f32_e32 v17, v16, v29
	v_fmac_f32_e32 v13, v12, v25
	v_fma_f32 v12, v14, v26, -v48
	v_fmac_f32_e32 v15, v14, v27
	v_add_f32_e32 v14, v18, v19
	v_add_f32_e32 v16, v7, v17
	v_sub_f32_e32 v18, v18, v19
	v_sub_f32_e32 v7, v7, v17
	v_add_f32_e32 v17, v6, v12
	v_add_f32_e32 v19, v9, v15
	v_sub_f32_e32 v6, v6, v12
	v_sub_f32_e32 v9, v9, v15
	;; [unrolled: 4-line block ×4, first 2 shown]
	v_sub_f32_e32 v14, v14, v12
	v_sub_f32_e32 v16, v16, v15
	;; [unrolled: 1-line block ×3, first 2 shown]
	v_add_f32_e32 v22, v8, v6
	v_sub_f32_e32 v24, v8, v6
	v_sub_f32_e32 v6, v6, v18
	v_add_f32_e32 v11, v12, v11
	v_add_f32_e32 v12, v15, v13
	v_sub_f32_e32 v19, v15, v19
	v_add_f32_e32 v23, v10, v9
	v_sub_f32_e32 v25, v10, v9
	v_sub_f32_e32 v8, v18, v8
	v_add_f32_e32 v13, v22, v18
	v_mul_f32_e32 v14, 0x3f4a47b2, v14
	v_mul_f32_e32 v15, 0x3f4a47b2, v16
	;; [unrolled: 1-line block ×5, first 2 shown]
	v_add_f32_e32 v4, v11, v4
	v_add_f32_e32 v5, v12, v5
	v_sub_f32_e32 v9, v9, v7
	v_sub_f32_e32 v10, v7, v10
	v_add_f32_e32 v7, v23, v7
	v_mul_f32_e32 v18, 0x3d64c772, v19
	v_mul_f32_e32 v23, 0xbf08b237, v25
	v_fmamk_f32 v17, v17, 0x3d64c772, v14
	v_fma_f32 v16, 0x3f3bfb3b, v20, -v16
	v_fma_f32 v14, 0xbf3bfb3b, v20, -v14
	v_fmamk_f32 v20, v8, 0x3eae86e6, v22
	v_fma_f32 v22, 0x3f5ff5aa, v6, -v22
	v_fma_f32 v24, 0xbeae86e6, v8, -v24
	v_mov_b32_e32 v6, v4
	v_mov_b32_e32 v8, v5
	v_mul_f32_e32 v25, 0x3f5ff5aa, v9
	v_fmamk_f32 v19, v19, 0x3d64c772, v15
	v_fma_f32 v18, 0x3f3bfb3b, v21, -v18
	v_fma_f32 v15, 0xbf3bfb3b, v21, -v15
	v_fmamk_f32 v21, v10, 0x3eae86e6, v23
	v_fmac_f32_e32 v6, 0xbf955555, v11
	v_fmac_f32_e32 v8, 0xbf955555, v12
	v_fma_f32 v23, 0x3f5ff5aa, v9, -v23
	v_fma_f32 v25, 0xbeae86e6, v10, -v25
	v_fmac_f32_e32 v20, 0x3ee1c552, v13
	v_fmac_f32_e32 v21, 0x3ee1c552, v7
	v_add_f32_e32 v17, v17, v6
	v_add_f32_e32 v19, v19, v8
	v_fmac_f32_e32 v22, 0x3ee1c552, v13
	v_fmac_f32_e32 v23, 0x3ee1c552, v7
	;; [unrolled: 1-line block ×4, first 2 shown]
	v_add_f32_e32 v12, v16, v6
	v_add_f32_e32 v14, v14, v6
	v_add_f32_e32 v15, v15, v8
	v_add_f32_e32 v13, v18, v8
	v_add_f32_e32 v6, v21, v17
	v_sub_f32_e32 v7, v19, v20
	v_add_f32_e32 v8, v25, v14
	v_sub_f32_e32 v9, v15, v24
	v_sub_f32_e32 v10, v12, v23
	v_add_f32_e32 v11, v22, v13
	v_add_f32_e32 v12, v23, v12
	v_sub_f32_e32 v13, v13, v22
	v_sub_f32_e32 v14, v14, v25
	v_add_f32_e32 v15, v24, v15
	v_sub_f32_e32 v16, v17, v21
	v_add_f32_e32 v17, v20, v19
	ds_write2_b64 v3, v[4:5], v[6:7] offset1:49
	ds_write2_b64 v3, v[8:9], v[10:11] offset0:98 offset1:147
	ds_write2_b64 v3, v[12:13], v[14:15] offset0:196 offset1:245
	ds_write_b64 v3, v[16:17] offset:2352
	s_waitcnt lgkmcnt(0)
	s_barrier
	buffer_gl0_inv
	ds_read_b64 v[15:16], v40
	ds_read2_b64 v[3:6], v0 offset0:49 offset1:98
	ds_read2_b64 v[7:10], v0 offset0:147 offset1:196
	;; [unrolled: 1-line block ×3, first 2 shown]
	v_lshlrev_b64 v[19:20], 3, v[1:2]
	v_add_nc_u32_e32 v1, s0, v1
	v_add_co_u32 v17, vcc_lo, v42, v34
	v_add_co_ci_u32_e32 v18, vcc_lo, v43, v35, vcc_lo
	v_add_co_u32 v21, vcc_lo, v42, v36
	v_lshlrev_b64 v[0:1], 3, v[1:2]
	v_add_co_ci_u32_e32 v22, vcc_lo, v43, v37, vcc_lo
	v_add_co_u32 v19, vcc_lo, v42, v19
	v_add_co_ci_u32_e32 v20, vcc_lo, v43, v20, vcc_lo
	v_add_co_u32 v0, vcc_lo, v42, v0
	v_add_co_ci_u32_e32 v1, vcc_lo, v43, v1, vcc_lo
	s_waitcnt lgkmcnt(3)
	global_store_dwordx2 v[38:39], v[15:16], off
	s_waitcnt lgkmcnt(2)
	global_store_dwordx2 v[30:31], v[3:4], off
	global_store_dwordx2 v[32:33], v[5:6], off
	s_waitcnt lgkmcnt(1)
	global_store_dwordx2 v[17:18], v[7:8], off
	;; [unrolled: 3-line block ×3, first 2 shown]
	global_store_dwordx2 v[0:1], v[13:14], off
	s_endpgm
	.section	.rodata,"a",@progbits
	.p2align	6, 0x0
	.amdhsa_kernel fft_rtc_fwd_len343_factors_7_7_7_wgs_245_tpt_49_sp_op_CI_CI_sbrc_xy_z_aligned
		.amdhsa_group_segment_fixed_size 0
		.amdhsa_private_segment_fixed_size 0
		.amdhsa_kernarg_size 104
		.amdhsa_user_sgpr_count 6
		.amdhsa_user_sgpr_private_segment_buffer 1
		.amdhsa_user_sgpr_dispatch_ptr 0
		.amdhsa_user_sgpr_queue_ptr 0
		.amdhsa_user_sgpr_kernarg_segment_ptr 1
		.amdhsa_user_sgpr_dispatch_id 0
		.amdhsa_user_sgpr_flat_scratch_init 0
		.amdhsa_user_sgpr_private_segment_size 0
		.amdhsa_wavefront_size32 1
		.amdhsa_uses_dynamic_stack 0
		.amdhsa_system_sgpr_private_segment_wavefront_offset 0
		.amdhsa_system_sgpr_workgroup_id_x 1
		.amdhsa_system_sgpr_workgroup_id_y 0
		.amdhsa_system_sgpr_workgroup_id_z 0
		.amdhsa_system_sgpr_workgroup_info 0
		.amdhsa_system_vgpr_workitem_id 0
		.amdhsa_next_free_vgpr 50
		.amdhsa_next_free_sgpr 32
		.amdhsa_reserve_vcc 1
		.amdhsa_reserve_flat_scratch 0
		.amdhsa_float_round_mode_32 0
		.amdhsa_float_round_mode_16_64 0
		.amdhsa_float_denorm_mode_32 3
		.amdhsa_float_denorm_mode_16_64 3
		.amdhsa_dx10_clamp 1
		.amdhsa_ieee_mode 1
		.amdhsa_fp16_overflow 0
		.amdhsa_workgroup_processor_mode 1
		.amdhsa_memory_ordered 1
		.amdhsa_forward_progress 0
		.amdhsa_shared_vgpr_count 0
		.amdhsa_exception_fp_ieee_invalid_op 0
		.amdhsa_exception_fp_denorm_src 0
		.amdhsa_exception_fp_ieee_div_zero 0
		.amdhsa_exception_fp_ieee_overflow 0
		.amdhsa_exception_fp_ieee_underflow 0
		.amdhsa_exception_fp_ieee_inexact 0
		.amdhsa_exception_int_div_zero 0
	.end_amdhsa_kernel
	.text
.Lfunc_end0:
	.size	fft_rtc_fwd_len343_factors_7_7_7_wgs_245_tpt_49_sp_op_CI_CI_sbrc_xy_z_aligned, .Lfunc_end0-fft_rtc_fwd_len343_factors_7_7_7_wgs_245_tpt_49_sp_op_CI_CI_sbrc_xy_z_aligned
                                        ; -- End function
	.section	.AMDGPU.csdata,"",@progbits
; Kernel info:
; codeLenInByte = 4168
; NumSgprs: 34
; NumVgprs: 50
; ScratchSize: 0
; MemoryBound: 0
; FloatMode: 240
; IeeeMode: 1
; LDSByteSize: 0 bytes/workgroup (compile time only)
; SGPRBlocks: 4
; VGPRBlocks: 6
; NumSGPRsForWavesPerEU: 34
; NumVGPRsForWavesPerEU: 50
; Occupancy: 16
; WaveLimiterHint : 1
; COMPUTE_PGM_RSRC2:SCRATCH_EN: 0
; COMPUTE_PGM_RSRC2:USER_SGPR: 6
; COMPUTE_PGM_RSRC2:TRAP_HANDLER: 0
; COMPUTE_PGM_RSRC2:TGID_X_EN: 1
; COMPUTE_PGM_RSRC2:TGID_Y_EN: 0
; COMPUTE_PGM_RSRC2:TGID_Z_EN: 0
; COMPUTE_PGM_RSRC2:TIDIG_COMP_CNT: 0
	.text
	.p2alignl 6, 3214868480
	.fill 48, 4, 3214868480
	.type	__hip_cuid_b729b9e4b03d008,@object ; @__hip_cuid_b729b9e4b03d008
	.section	.bss,"aw",@nobits
	.globl	__hip_cuid_b729b9e4b03d008
__hip_cuid_b729b9e4b03d008:
	.byte	0                               ; 0x0
	.size	__hip_cuid_b729b9e4b03d008, 1

	.ident	"AMD clang version 19.0.0git (https://github.com/RadeonOpenCompute/llvm-project roc-6.4.0 25133 c7fe45cf4b819c5991fe208aaa96edf142730f1d)"
	.section	".note.GNU-stack","",@progbits
	.addrsig
	.addrsig_sym __hip_cuid_b729b9e4b03d008
	.amdgpu_metadata
---
amdhsa.kernels:
  - .args:
      - .actual_access:  read_only
        .address_space:  global
        .offset:         0
        .size:           8
        .value_kind:     global_buffer
      - .offset:         8
        .size:           8
        .value_kind:     by_value
      - .actual_access:  read_only
        .address_space:  global
        .offset:         16
        .size:           8
        .value_kind:     global_buffer
      - .actual_access:  read_only
        .address_space:  global
        .offset:         24
        .size:           8
        .value_kind:     global_buffer
      - .actual_access:  read_only
        .address_space:  global
        .offset:         32
        .size:           8
        .value_kind:     global_buffer
      - .offset:         40
        .size:           8
        .value_kind:     by_value
      - .actual_access:  read_only
        .address_space:  global
        .offset:         48
        .size:           8
        .value_kind:     global_buffer
      - .actual_access:  read_only
        .address_space:  global
        .offset:         56
        .size:           8
        .value_kind:     global_buffer
      - .offset:         64
        .size:           4
        .value_kind:     by_value
      - .actual_access:  read_only
        .address_space:  global
        .offset:         72
        .size:           8
        .value_kind:     global_buffer
      - .actual_access:  read_only
        .address_space:  global
        .offset:         80
        .size:           8
        .value_kind:     global_buffer
      - .actual_access:  read_only
        .address_space:  global
        .offset:         88
        .size:           8
        .value_kind:     global_buffer
      - .actual_access:  write_only
        .address_space:  global
        .offset:         96
        .size:           8
        .value_kind:     global_buffer
    .group_segment_fixed_size: 0
    .kernarg_segment_align: 8
    .kernarg_segment_size: 104
    .language:       OpenCL C
    .language_version:
      - 2
      - 0
    .max_flat_workgroup_size: 245
    .name:           fft_rtc_fwd_len343_factors_7_7_7_wgs_245_tpt_49_sp_op_CI_CI_sbrc_xy_z_aligned
    .private_segment_fixed_size: 0
    .sgpr_count:     34
    .sgpr_spill_count: 0
    .symbol:         fft_rtc_fwd_len343_factors_7_7_7_wgs_245_tpt_49_sp_op_CI_CI_sbrc_xy_z_aligned.kd
    .uniform_work_group_size: 1
    .uses_dynamic_stack: false
    .vgpr_count:     50
    .vgpr_spill_count: 0
    .wavefront_size: 32
    .workgroup_processor_mode: 1
amdhsa.target:   amdgcn-amd-amdhsa--gfx1030
amdhsa.version:
  - 1
  - 2
...

	.end_amdgpu_metadata
